;; amdgpu-corpus repo=ROCm/rocFFT kind=compiled arch=gfx1030 opt=O3
	.text
	.amdgcn_target "amdgcn-amd-amdhsa--gfx1030"
	.amdhsa_code_object_version 6
	.protected	fft_rtc_fwd_len1089_factors_3_11_3_11_wgs_121_tpt_121_half_op_CI_CI_unitstride_sbrr_dirReg ; -- Begin function fft_rtc_fwd_len1089_factors_3_11_3_11_wgs_121_tpt_121_half_op_CI_CI_unitstride_sbrr_dirReg
	.globl	fft_rtc_fwd_len1089_factors_3_11_3_11_wgs_121_tpt_121_half_op_CI_CI_unitstride_sbrr_dirReg
	.p2align	8
	.type	fft_rtc_fwd_len1089_factors_3_11_3_11_wgs_121_tpt_121_half_op_CI_CI_unitstride_sbrr_dirReg,@function
fft_rtc_fwd_len1089_factors_3_11_3_11_wgs_121_tpt_121_half_op_CI_CI_unitstride_sbrr_dirReg: ; @fft_rtc_fwd_len1089_factors_3_11_3_11_wgs_121_tpt_121_half_op_CI_CI_unitstride_sbrr_dirReg
; %bb.0:
	s_clause 0x2
	s_load_dwordx4 s[12:15], s[4:5], 0x0
	s_load_dwordx4 s[8:11], s[4:5], 0x58
	;; [unrolled: 1-line block ×3, first 2 shown]
	v_mul_u32_u24_e32 v1, 0x21e, v0
	v_mov_b32_e32 v3, 0
	v_add_nc_u32_sdwa v5, s6, v1 dst_sel:DWORD dst_unused:UNUSED_PAD src0_sel:DWORD src1_sel:WORD_1
	v_mov_b32_e32 v1, 0
	v_mov_b32_e32 v6, v3
	v_mov_b32_e32 v2, 0
	s_waitcnt lgkmcnt(0)
	v_cmp_lt_u64_e64 s0, s[14:15], 2
	s_and_b32 vcc_lo, exec_lo, s0
	s_cbranch_vccnz .LBB0_8
; %bb.1:
	s_load_dwordx2 s[0:1], s[4:5], 0x10
	v_mov_b32_e32 v1, 0
	v_mov_b32_e32 v2, 0
	s_add_u32 s2, s18, 8
	s_addc_u32 s3, s19, 0
	s_add_u32 s6, s16, 8
	s_addc_u32 s7, s17, 0
	v_mov_b32_e32 v9, v2
	v_mov_b32_e32 v8, v1
	s_mov_b64 s[22:23], 1
	s_waitcnt lgkmcnt(0)
	s_add_u32 s20, s0, 8
	s_addc_u32 s21, s1, 0
.LBB0_2:                                ; =>This Inner Loop Header: Depth=1
	s_load_dwordx2 s[24:25], s[20:21], 0x0
                                        ; implicit-def: $vgpr11_vgpr12
	s_mov_b32 s0, exec_lo
	s_waitcnt lgkmcnt(0)
	v_or_b32_e32 v4, s25, v6
	v_cmpx_ne_u64_e32 0, v[3:4]
	s_xor_b32 s1, exec_lo, s0
	s_cbranch_execz .LBB0_4
; %bb.3:                                ;   in Loop: Header=BB0_2 Depth=1
	v_cvt_f32_u32_e32 v4, s24
	v_cvt_f32_u32_e32 v7, s25
	s_sub_u32 s0, 0, s24
	s_subb_u32 s26, 0, s25
	v_fmac_f32_e32 v4, 0x4f800000, v7
	v_rcp_f32_e32 v4, v4
	v_mul_f32_e32 v4, 0x5f7ffffc, v4
	v_mul_f32_e32 v7, 0x2f800000, v4
	v_trunc_f32_e32 v7, v7
	v_fmac_f32_e32 v4, 0xcf800000, v7
	v_cvt_u32_f32_e32 v7, v7
	v_cvt_u32_f32_e32 v4, v4
	v_mul_lo_u32 v10, s0, v7
	v_mul_hi_u32 v11, s0, v4
	v_mul_lo_u32 v12, s26, v4
	v_add_nc_u32_e32 v10, v11, v10
	v_mul_lo_u32 v11, s0, v4
	v_add_nc_u32_e32 v10, v10, v12
	v_mul_hi_u32 v12, v4, v11
	v_mul_lo_u32 v13, v4, v10
	v_mul_hi_u32 v14, v4, v10
	v_mul_hi_u32 v15, v7, v11
	v_mul_lo_u32 v11, v7, v11
	v_mul_hi_u32 v16, v7, v10
	v_mul_lo_u32 v10, v7, v10
	v_add_co_u32 v12, vcc_lo, v12, v13
	v_add_co_ci_u32_e32 v13, vcc_lo, 0, v14, vcc_lo
	v_add_co_u32 v11, vcc_lo, v12, v11
	v_add_co_ci_u32_e32 v11, vcc_lo, v13, v15, vcc_lo
	v_add_co_ci_u32_e32 v12, vcc_lo, 0, v16, vcc_lo
	v_add_co_u32 v10, vcc_lo, v11, v10
	v_add_co_ci_u32_e32 v11, vcc_lo, 0, v12, vcc_lo
	v_add_co_u32 v4, vcc_lo, v4, v10
	v_add_co_ci_u32_e32 v7, vcc_lo, v7, v11, vcc_lo
	v_mul_hi_u32 v10, s0, v4
	v_mul_lo_u32 v12, s26, v4
	v_mul_lo_u32 v11, s0, v7
	v_add_nc_u32_e32 v10, v10, v11
	v_mul_lo_u32 v11, s0, v4
	v_add_nc_u32_e32 v10, v10, v12
	v_mul_hi_u32 v12, v4, v11
	v_mul_lo_u32 v13, v4, v10
	v_mul_hi_u32 v14, v4, v10
	v_mul_hi_u32 v15, v7, v11
	v_mul_lo_u32 v11, v7, v11
	v_mul_hi_u32 v16, v7, v10
	v_mul_lo_u32 v10, v7, v10
	v_add_co_u32 v12, vcc_lo, v12, v13
	v_add_co_ci_u32_e32 v13, vcc_lo, 0, v14, vcc_lo
	v_add_co_u32 v11, vcc_lo, v12, v11
	v_add_co_ci_u32_e32 v11, vcc_lo, v13, v15, vcc_lo
	v_add_co_ci_u32_e32 v12, vcc_lo, 0, v16, vcc_lo
	v_add_co_u32 v10, vcc_lo, v11, v10
	v_add_co_ci_u32_e32 v11, vcc_lo, 0, v12, vcc_lo
	v_add_co_u32 v4, vcc_lo, v4, v10
	v_add_co_ci_u32_e32 v7, vcc_lo, v7, v11, vcc_lo
	v_mul_hi_u32 v16, v5, v4
	v_mad_u64_u32 v[12:13], null, v6, v4, 0
	v_mad_u64_u32 v[10:11], null, v5, v7, 0
	;; [unrolled: 1-line block ×3, first 2 shown]
	v_add_co_u32 v4, vcc_lo, v16, v10
	v_add_co_ci_u32_e32 v7, vcc_lo, 0, v11, vcc_lo
	v_add_co_u32 v4, vcc_lo, v4, v12
	v_add_co_ci_u32_e32 v4, vcc_lo, v7, v13, vcc_lo
	v_add_co_ci_u32_e32 v7, vcc_lo, 0, v15, vcc_lo
	v_add_co_u32 v4, vcc_lo, v4, v14
	v_add_co_ci_u32_e32 v7, vcc_lo, 0, v7, vcc_lo
	v_mul_lo_u32 v12, s25, v4
	v_mad_u64_u32 v[10:11], null, s24, v4, 0
	v_mul_lo_u32 v13, s24, v7
	v_sub_co_u32 v10, vcc_lo, v5, v10
	v_add3_u32 v11, v11, v13, v12
	v_sub_nc_u32_e32 v12, v6, v11
	v_subrev_co_ci_u32_e64 v12, s0, s25, v12, vcc_lo
	v_add_co_u32 v13, s0, v4, 2
	v_add_co_ci_u32_e64 v14, s0, 0, v7, s0
	v_sub_co_u32 v15, s0, v10, s24
	v_sub_co_ci_u32_e32 v11, vcc_lo, v6, v11, vcc_lo
	v_subrev_co_ci_u32_e64 v12, s0, 0, v12, s0
	v_cmp_le_u32_e32 vcc_lo, s24, v15
	v_cmp_eq_u32_e64 s0, s25, v11
	v_cndmask_b32_e64 v15, 0, -1, vcc_lo
	v_cmp_le_u32_e32 vcc_lo, s25, v12
	v_cndmask_b32_e64 v16, 0, -1, vcc_lo
	v_cmp_le_u32_e32 vcc_lo, s24, v10
	;; [unrolled: 2-line block ×3, first 2 shown]
	v_cndmask_b32_e64 v17, 0, -1, vcc_lo
	v_cmp_eq_u32_e32 vcc_lo, s25, v12
	v_cndmask_b32_e64 v10, v17, v10, s0
	v_cndmask_b32_e32 v12, v16, v15, vcc_lo
	v_add_co_u32 v15, vcc_lo, v4, 1
	v_add_co_ci_u32_e32 v16, vcc_lo, 0, v7, vcc_lo
	v_cmp_ne_u32_e32 vcc_lo, 0, v12
	v_cndmask_b32_e32 v11, v16, v14, vcc_lo
	v_cndmask_b32_e32 v13, v15, v13, vcc_lo
	v_cmp_ne_u32_e32 vcc_lo, 0, v10
	v_cndmask_b32_e32 v12, v7, v11, vcc_lo
	v_cndmask_b32_e32 v11, v4, v13, vcc_lo
.LBB0_4:                                ;   in Loop: Header=BB0_2 Depth=1
	s_andn2_saveexec_b32 s0, s1
	s_cbranch_execz .LBB0_6
; %bb.5:                                ;   in Loop: Header=BB0_2 Depth=1
	v_cvt_f32_u32_e32 v4, s24
	s_sub_i32 s1, 0, s24
	v_mov_b32_e32 v12, v3
	v_rcp_iflag_f32_e32 v4, v4
	v_mul_f32_e32 v4, 0x4f7ffffe, v4
	v_cvt_u32_f32_e32 v4, v4
	v_mul_lo_u32 v7, s1, v4
	v_mul_hi_u32 v7, v4, v7
	v_add_nc_u32_e32 v4, v4, v7
	v_mul_hi_u32 v4, v5, v4
	v_mul_lo_u32 v7, v4, s24
	v_add_nc_u32_e32 v10, 1, v4
	v_sub_nc_u32_e32 v7, v5, v7
	v_subrev_nc_u32_e32 v11, s24, v7
	v_cmp_le_u32_e32 vcc_lo, s24, v7
	v_cndmask_b32_e32 v7, v7, v11, vcc_lo
	v_cndmask_b32_e32 v4, v4, v10, vcc_lo
	v_cmp_le_u32_e32 vcc_lo, s24, v7
	v_add_nc_u32_e32 v10, 1, v4
	v_cndmask_b32_e32 v11, v4, v10, vcc_lo
.LBB0_6:                                ;   in Loop: Header=BB0_2 Depth=1
	s_or_b32 exec_lo, exec_lo, s0
	v_mul_lo_u32 v4, v12, s24
	v_mul_lo_u32 v7, v11, s25
	s_load_dwordx2 s[0:1], s[6:7], 0x0
	v_mad_u64_u32 v[13:14], null, v11, s24, 0
	s_load_dwordx2 s[24:25], s[2:3], 0x0
	s_add_u32 s22, s22, 1
	s_addc_u32 s23, s23, 0
	s_add_u32 s2, s2, 8
	s_addc_u32 s3, s3, 0
	s_add_u32 s6, s6, 8
	v_add3_u32 v4, v14, v7, v4
	v_sub_co_u32 v5, vcc_lo, v5, v13
	s_addc_u32 s7, s7, 0
	s_add_u32 s20, s20, 8
	v_sub_co_ci_u32_e32 v4, vcc_lo, v6, v4, vcc_lo
	s_addc_u32 s21, s21, 0
	s_waitcnt lgkmcnt(0)
	v_mul_lo_u32 v6, s0, v4
	v_mul_lo_u32 v7, s1, v5
	v_mad_u64_u32 v[1:2], null, s0, v5, v[1:2]
	v_mul_lo_u32 v4, s24, v4
	v_mul_lo_u32 v10, s25, v5
	v_mad_u64_u32 v[8:9], null, s24, v5, v[8:9]
	v_cmp_ge_u64_e64 s0, s[22:23], s[14:15]
	v_add3_u32 v2, v7, v2, v6
	v_add3_u32 v9, v10, v9, v4
	s_and_b32 vcc_lo, exec_lo, s0
	s_cbranch_vccnz .LBB0_9
; %bb.7:                                ;   in Loop: Header=BB0_2 Depth=1
	v_mov_b32_e32 v5, v11
	v_mov_b32_e32 v6, v12
	s_branch .LBB0_2
.LBB0_8:
	v_mov_b32_e32 v9, v2
	v_mov_b32_e32 v12, v6
	;; [unrolled: 1-line block ×4, first 2 shown]
.LBB0_9:
	s_load_dwordx2 s[0:1], s[4:5], 0x28
	v_mul_hi_u32 v5, 0x21d9eae, v0
	s_lshl_b64 s[4:5], s[14:15], 3
                                        ; implicit-def: $vgpr10
	s_add_u32 s2, s18, s4
	s_addc_u32 s3, s19, s5
	s_waitcnt lgkmcnt(0)
	v_cmp_gt_u64_e32 vcc_lo, s[0:1], v[11:12]
	v_cmp_le_u64_e64 s0, s[0:1], v[11:12]
	s_and_saveexec_b32 s1, s0
	s_xor_b32 s0, exec_lo, s1
; %bb.10:
	v_mul_u32_u24_e32 v1, 0x79, v5
                                        ; implicit-def: $vgpr5
	v_sub_nc_u32_e32 v10, v0, v1
                                        ; implicit-def: $vgpr0
                                        ; implicit-def: $vgpr1_vgpr2
; %bb.11:
	s_or_saveexec_b32 s1, s0
                                        ; implicit-def: $vgpr16
                                        ; implicit-def: $vgpr17
                                        ; implicit-def: $vgpr7
                                        ; implicit-def: $vgpr4
                                        ; implicit-def: $vgpr15
                                        ; implicit-def: $vgpr3
                                        ; implicit-def: $vgpr13
                                        ; implicit-def: $vgpr6
                                        ; implicit-def: $vgpr14
	s_xor_b32 exec_lo, exec_lo, s1
	s_cbranch_execz .LBB0_13
; %bb.12:
	s_add_u32 s4, s16, s4
	s_addc_u32 s5, s17, s5
	v_mul_u32_u24_e32 v5, 0x79, v5
	s_load_dwordx2 s[4:5], s[4:5], 0x0
	v_lshlrev_b64 v[1:2], 2, v[1:2]
	v_sub_nc_u32_e32 v10, v0, v5
	s_waitcnt lgkmcnt(0)
	v_mul_lo_u32 v6, s5, v11
	v_mul_lo_u32 v7, s4, v12
	v_mad_u64_u32 v[3:4], null, s4, v11, 0
	v_add3_u32 v4, v4, v7, v6
	v_lshlrev_b64 v[3:4], 2, v[3:4]
	v_add_co_u32 v0, s0, s8, v3
	v_add_co_ci_u32_e64 v3, s0, s9, v4, s0
	v_lshlrev_b32_e32 v4, 2, v10
	v_add_co_u32 v0, s0, v0, v1
	v_add_co_ci_u32_e64 v1, s0, v3, v2, s0
	v_add_co_u32 v0, s0, v0, v4
	v_add_co_ci_u32_e64 v1, s0, 0, v1, s0
	;; [unrolled: 2-line block ×3, first 2 shown]
	s_clause 0x8
	global_load_dword v16, v[0:1], off
	global_load_dword v4, v[0:1], off offset:484
	global_load_dword v15, v[0:1], off offset:1936
	global_load_dword v3, v[18:19], off offset:1340
	global_load_dword v7, v[18:19], off offset:856
	global_load_dword v6, v[18:19], off offset:372
	global_load_dword v17, v[0:1], off offset:1452
	global_load_dword v14, v[0:1], off offset:968
	global_load_dword v13, v[18:19], off offset:1824
.LBB0_13:
	s_or_b32 exec_lo, exec_lo, s1
	s_waitcnt vmcnt(2)
	v_pk_add_f16 v0, v17, v7
	v_pk_add_f16 v1, v17, v7 neg_lo:[0,1] neg_hi:[0,1]
	v_pk_add_f16 v19, v15, v3
	s_load_dwordx2 s[2:3], s[2:3], 0x0
	v_mad_u32_u24 v5, v10, 12, 0
	v_pk_fma_f16 v0, v0, 0.5, v16 op_sel_hi:[1,0,1] neg_lo:[1,0,0] neg_hi:[1,0,0]
	v_pk_mul_f16 v1, 0x3aee, v1 op_sel_hi:[0,1]
	v_pk_add_f16 v16, v16, v17
	v_pk_add_f16 v17, v4, v15
	v_pk_add_f16 v15, v15, v3 neg_lo:[0,1] neg_hi:[0,1]
	s_waitcnt vmcnt(0)
	v_pk_add_f16 v20, v13, v6
	v_pk_add_f16 v2, v0, v1 op_sel:[0,1] op_sel_hi:[1,0] neg_lo:[0,1] neg_hi:[0,1]
	v_pk_add_f16 v1, v0, v1 op_sel:[0,1] op_sel_hi:[1,0]
	v_pk_add_f16 v0, v16, v7
	v_pk_fma_f16 v4, v19, 0.5, v4 op_sel_hi:[1,0,1] neg_lo:[1,0,0] neg_hi:[1,0,0]
	v_pk_mul_f16 v15, 0x3aee, v15 op_sel_hi:[0,1]
	v_pk_add_f16 v19, v6, v13 neg_lo:[0,1] neg_hi:[0,1]
	v_bfi_b32 v7, 0xffff, v1, v2
	v_pk_add_f16 v18, v6, v14
	v_bfi_b32 v16, 0xffff, v2, v1
	v_pk_add_f16 v6, v4, v15 op_sel:[0,1] op_sel_hi:[1,0]
	v_pk_fma_f16 v14, v20, 0.5, v14 op_sel_hi:[1,0,1] neg_lo:[1,0,0] neg_hi:[1,0,0]
	ds_write2_b32 v5, v0, v7 offset1:1
	v_pk_add_f16 v7, v4, v15 op_sel:[0,1] op_sel_hi:[1,0] neg_lo:[0,1] neg_hi:[0,1]
	v_pk_mul_f16 v15, 0x3aee, v19 op_sel_hi:[0,1]
	ds_write_b32 v5, v16 offset:8
	v_add_nc_u32_e32 v16, 0x5ac, v5
	v_pk_add_f16 v3, v17, v3
	v_bfi_b32 v17, 0xffff, v6, v7
	v_pk_add_f16 v4, v14, v15 op_sel:[0,1] op_sel_hi:[1,0] neg_lo:[0,1] neg_hi:[0,1]
	v_pk_add_f16 v14, v14, v15 op_sel:[0,1] op_sel_hi:[1,0]
	v_pk_add_f16 v13, v13, v18
	v_bfi_b32 v15, 0xffff, v7, v6
	v_lshrrev_b32_e32 v25, 16, v1
	v_lshrrev_b32_e32 v28, 16, v6
	;; [unrolled: 1-line block ×3, first 2 shown]
	v_add_nc_u32_e32 v19, 0xb58, v5
	v_bfi_b32 v18, 0xffff, v14, v4
	ds_write2_b32 v16, v3, v17 offset1:1
	ds_write_b32 v5, v15 offset:1460
	v_lshrrev_b32_e32 v26, 16, v14
	v_lshrrev_b32_e32 v34, 16, v13
	v_bfi_b32 v15, 0xffff, v4, v14
	v_cmp_gt_u32_e64 s0, 0x63, v10
	v_lshrrev_b32_e32 v35, 16, v2
	v_lshrrev_b32_e32 v36, 16, v7
	v_lshrrev_b32_e32 v44, 16, v4
	ds_write2_b32 v19, v13, v18 offset1:1
	ds_write_b32 v5, v15 offset:2912
	s_waitcnt lgkmcnt(0)
	s_barrier
	buffer_gl0_inv
                                        ; implicit-def: $vgpr33
                                        ; implicit-def: $vgpr27
                                        ; implicit-def: $vgpr43
	s_and_saveexec_b32 s1, s0
	s_cbranch_execz .LBB0_15
; %bb.14:
	v_lshlrev_b32_e32 v0, 3, v10
	v_sub_nc_u32_e32 v2, v5, v0
	v_add_nc_u32_e32 v3, 0xc00, v2
	v_add_nc_u32_e32 v6, 0x200, v2
	;; [unrolled: 1-line block ×4, first 2 shown]
	ds_read2_b32 v[0:1], v2 offset1:99
	ds_read_b32 v27, v2 offset:3960
	ds_read2_b32 v[4:5], v3 offset0:24 offset1:123
	ds_read2_b32 v[2:3], v6 offset0:70 offset1:169
	;; [unrolled: 1-line block ×4, first 2 shown]
	s_waitcnt lgkmcnt(5)
	v_lshrrev_b32_e32 v35, 16, v1
	s_waitcnt lgkmcnt(4)
	v_lshrrev_b32_e32 v33, 16, v27
	;; [unrolled: 2-line block ×3, first 2 shown]
	v_lshrrev_b32_e32 v43, 16, v5
	s_waitcnt lgkmcnt(2)
	v_lshrrev_b32_e32 v25, 16, v2
	v_lshrrev_b32_e32 v30, 16, v3
	s_waitcnt lgkmcnt(1)
	v_lshrrev_b32_e32 v36, 16, v6
	;; [unrolled: 3-line block ×3, first 2 shown]
	v_lshrrev_b32_e32 v44, 16, v14
.LBB0_15:
	s_or_b32 exec_lo, exec_lo, s1
	v_and_b32_e32 v15, 0xff, v10
	v_mov_b32_e32 v18, 10
	v_mul_lo_u16 v16, 0xab, v15
	v_lshrrev_b16 v16, 9, v16
	v_mul_lo_u16 v17, v16, 3
	v_sub_nc_u16 v17, v10, v17
	v_mul_u32_u24_sdwa v18, v17, v18 dst_sel:DWORD dst_unused:UNUSED_PAD src0_sel:BYTE_0 src1_sel:DWORD
	v_lshlrev_b32_e32 v18, 2, v18
	s_clause 0x2
	global_load_dwordx4 v[45:48], v18, s[12:13]
	global_load_dwordx4 v[49:52], v18, s[12:13] offset:16
	global_load_dwordx2 v[53:54], v18, s[12:13] offset:32
	s_waitcnt vmcnt(0)
	s_barrier
	buffer_gl0_inv
	v_mul_f16_sdwa v37, v35, v45 dst_sel:DWORD dst_unused:UNUSED_PAD src0_sel:DWORD src1_sel:WORD_1
	v_mul_f16_sdwa v32, v1, v45 dst_sel:DWORD dst_unused:UNUSED_PAD src0_sel:DWORD src1_sel:WORD_1
	v_mul_f16_sdwa v57, v34, v50 dst_sel:DWORD dst_unused:UNUSED_PAD src0_sel:DWORD src1_sel:WORD_1
	v_mul_f16_sdwa v61, v33, v54 dst_sel:DWORD dst_unused:UNUSED_PAD src0_sel:DWORD src1_sel:WORD_1
	v_mul_f16_sdwa v18, v27, v54 dst_sel:DWORD dst_unused:UNUSED_PAD src0_sel:DWORD src1_sel:WORD_1
	v_mul_f16_sdwa v38, v25, v46 dst_sel:DWORD dst_unused:UNUSED_PAD src0_sel:DWORD src1_sel:WORD_1
	v_mul_f16_sdwa v31, v2, v46 dst_sel:DWORD dst_unused:UNUSED_PAD src0_sel:DWORD src1_sel:WORD_1
	v_mul_f16_sdwa v22, v13, v50 dst_sel:DWORD dst_unused:UNUSED_PAD src0_sel:DWORD src1_sel:WORD_1
	v_mul_f16_sdwa v59, v26, v52 dst_sel:DWORD dst_unused:UNUSED_PAD src0_sel:DWORD src1_sel:WORD_1
	v_mul_f16_sdwa v60, v43, v53 dst_sel:DWORD dst_unused:UNUSED_PAD src0_sel:DWORD src1_sel:WORD_1
	v_mul_f16_sdwa v19, v5, v53 dst_sel:DWORD dst_unused:UNUSED_PAD src0_sel:DWORD src1_sel:WORD_1
	v_fma_f16 v42, v1, v45, -v37
	v_fmac_f16_e32 v32, v35, v45
	v_fma_f16 v37, v13, v50, -v57
	v_fma_f16 v13, v27, v54, -v61
	v_fmac_f16_e32 v18, v33, v54
	v_mul_f16_sdwa v39, v30, v47 dst_sel:DWORD dst_unused:UNUSED_PAD src0_sel:DWORD src1_sel:WORD_1
	v_mul_f16_sdwa v29, v3, v47 dst_sel:DWORD dst_unused:UNUSED_PAD src0_sel:DWORD src1_sel:WORD_1
	;; [unrolled: 1-line block ×5, first 2 shown]
	v_fma_f16 v41, v2, v46, -v38
	v_fmac_f16_e32 v31, v25, v46
	v_fmac_f16_e32 v22, v34, v50
	v_fma_f16 v35, v4, v52, -v59
	v_fma_f16 v34, v5, v53, -v60
	v_fmac_f16_e32 v19, v43, v53
	v_sub_f16_e32 v59, v42, v13
	v_sub_f16_e32 v53, v32, v18
	v_mul_f16_sdwa v55, v36, v48 dst_sel:DWORD dst_unused:UNUSED_PAD src0_sel:DWORD src1_sel:WORD_1
	v_mul_f16_sdwa v23, v7, v49 dst_sel:DWORD dst_unused:UNUSED_PAD src0_sel:DWORD src1_sel:WORD_1
	;; [unrolled: 1-line block ×3, first 2 shown]
	v_fma_f16 v40, v3, v47, -v39
	v_fmac_f16_e32 v29, v30, v47
	v_fmac_f16_e32 v24, v36, v48
	v_fma_f16 v36, v14, v51, -v58
	v_fmac_f16_e32 v20, v26, v52
	v_add_f16_e32 v1, v42, v13
	v_add_f16_e32 v3, v32, v18
	v_sub_f16_e32 v62, v41, v34
	v_sub_f16_e32 v54, v31, v19
	v_mul_f16_e32 v46, 0xb853, v53
	v_mul_f16_e32 v58, 0xb853, v59
	v_mul_f16_e32 v67, 0xbb47, v53
	v_mul_f16_e32 v69, 0xbb47, v59
	v_mul_f16_sdwa v56, v28, v49 dst_sel:DWORD dst_unused:UNUSED_PAD src0_sel:DWORD src1_sel:WORD_1
	v_fma_f16 v39, v6, v48, -v55
	v_fmac_f16_e32 v23, v28, v49
	v_fmac_f16_e32 v21, v44, v51
	v_add_f16_e32 v2, v41, v34
	v_add_f16_e32 v4, v31, v19
	v_sub_f16_e32 v64, v40, v35
	v_sub_f16_e32 v51, v29, v20
	v_mul_f16_e32 v47, 0xbb47, v54
	v_mul_f16_e32 v57, 0xbb47, v62
	;; [unrolled: 1-line block ×4, first 2 shown]
	v_fmamk_f16 v14, v1, 0x3abb, v46
	v_fma_f16 v26, v3, 0x3abb, -v58
	v_fmamk_f16 v27, v1, 0x36a6, v67
	v_fma_f16 v28, v3, 0x36a6, -v69
	v_fma_f16 v38, v7, v49, -v56
	v_add_f16_e32 v5, v40, v35
	v_add_f16_e32 v7, v29, v20
	v_sub_f16_e32 v49, v24, v21
	v_sub_f16_e32 v71, v39, v36
	v_mul_f16_e32 v45, 0xbbeb, v51
	v_mul_f16_e32 v56, 0xbbeb, v64
	;; [unrolled: 1-line block ×4, first 2 shown]
	v_fmamk_f16 v73, v2, 0x36a6, v47
	v_fma_f16 v74, v4, 0x36a6, -v57
	v_fmamk_f16 v75, v2, 0xb93d, v65
	v_fma_f16 v76, v4, 0xb93d, -v70
	v_add_f16_e32 v14, v0, v14
	v_add_f16_sdwa v26, v0, v26 dst_sel:DWORD dst_unused:UNUSED_PAD src0_sel:WORD_1 src1_sel:DWORD
	v_add_f16_sdwa v28, v0, v28 dst_sel:DWORD dst_unused:UNUSED_PAD src0_sel:WORD_1 src1_sel:DWORD
	v_add_f16_e32 v27, v0, v27
	v_add_f16_e32 v6, v39, v36
	;; [unrolled: 1-line block ×3, first 2 shown]
	v_sub_f16_e32 v52, v23, v22
	v_sub_f16_e32 v72, v38, v37
	v_mul_f16_e32 v44, 0xba0c, v49
	v_mul_f16_e32 v50, 0xba0c, v71
	;; [unrolled: 1-line block ×4, first 2 shown]
	v_fmamk_f16 v77, v5, 0xb08e, v45
	v_fma_f16 v78, v7, 0xb08e, -v56
	v_fmamk_f16 v79, v5, 0xbbad, v63
	v_fma_f16 v80, v7, 0xbbad, -v68
	v_add_f16_e32 v14, v73, v14
	v_add_f16_e32 v26, v74, v26
	;; [unrolled: 1-line block ×6, first 2 shown]
	v_mul_f16_e32 v43, 0xb482, v52
	v_mul_f16_e32 v48, 0xb482, v72
	;; [unrolled: 1-line block ×4, first 2 shown]
	v_fmamk_f16 v81, v6, 0xb93d, v44
	v_fma_f16 v82, v25, 0xb93d, -v50
	v_fmamk_f16 v83, v6, 0xb08e, v60
	v_fma_f16 v84, v25, 0xb08e, -v66
	v_add_f16_e32 v14, v77, v14
	v_add_f16_e32 v26, v78, v26
	;; [unrolled: 1-line block ×4, first 2 shown]
	v_fmamk_f16 v85, v30, 0xbbad, v43
	v_fma_f16 v86, v33, 0xbbad, -v48
	v_fma_f16 v73, v33, 0x3abb, -v61
	v_fmamk_f16 v74, v30, 0x3abb, v55
	v_add_f16_e32 v14, v81, v14
	v_add_f16_e32 v75, v82, v26
	;; [unrolled: 1-line block ×8, first 2 shown]
	s_and_saveexec_b32 s1, s0
	s_cbranch_execz .LBB0_17
; %bb.16:
	v_mul_f16_e32 v73, 0xb482, v59
	v_mul_f16_e32 v75, 0xb482, v53
	;; [unrolled: 1-line block ×5, first 2 shown]
	v_fmamk_f16 v78, v3, 0xbbad, v73
	v_fma_f16 v82, v1, 0xbbad, -v75
	v_mul_f16_e32 v79, 0xba0c, v51
	v_fmamk_f16 v81, v4, 0x3abb, v74
	v_fma_f16 v84, v2, 0x3abb, -v76
	v_add_f16_sdwa v78, v0, v78 dst_sel:DWORD dst_unused:UNUSED_PAD src0_sel:WORD_1 src1_sel:DWORD
	v_add_f16_e32 v82, v0, v82
	v_mul_f16_e32 v80, 0x3b47, v71
	v_mul_f16_e32 v83, 0x3b47, v49
	v_fmamk_f16 v85, v7, 0xb93d, v77
	v_add_f16_e32 v78, v81, v78
	v_mul_f16_e32 v81, 0xba0c, v59
	v_fma_f16 v86, v5, 0xb93d, -v79
	v_add_f16_e32 v82, v84, v82
	v_fmamk_f16 v87, v25, 0x36a6, v80
	v_add_f16_e32 v78, v85, v78
	v_fmamk_f16 v84, v3, 0xb93d, v81
	v_mul_f16_e32 v85, 0x3beb, v62
	v_fma_f16 v88, v6, 0x36a6, -v83
	v_add_f16_e32 v82, v86, v82
	v_add_f16_e32 v78, v87, v78
	v_add_f16_sdwa v84, v0, v84 dst_sel:DWORD dst_unused:UNUSED_PAD src0_sel:WORD_1 src1_sel:DWORD
	v_fmamk_f16 v86, v4, 0xb08e, v85
	v_mul_f16_e32 v87, 0xb853, v64
	v_add_f16_e32 v82, v88, v82
	v_mul_f16_e32 v88, 0xbbeb, v72
	v_mul_f16_e32 v89, 0xbbeb, v52
	v_add_f16_e32 v84, v86, v84
	v_fmamk_f16 v86, v7, 0x3abb, v87
	v_mul_f16_e32 v90, 0xb482, v71
	v_fmamk_f16 v91, v33, 0xb08e, v88
	v_mul_f16_e32 v92, 0xba0c, v53
	v_fma_f16 v93, v30, 0xb08e, -v89
	v_add_f16_e32 v84, v86, v84
	v_fmamk_f16 v86, v25, 0xbbad, v90
	v_add_f16_e32 v78, v91, v78
	v_fma_f16 v91, v1, 0xb93d, -v92
	v_mul_f16_e32 v94, 0x3beb, v54
	v_mul_f16_e32 v59, 0xbbeb, v59
	v_add_f16_e32 v82, v93, v82
	v_add_f16_e32 v84, v86, v84
	;; [unrolled: 1-line block ×3, first 2 shown]
	v_fma_f16 v91, v2, 0xb08e, -v94
	v_mul_f16_e32 v93, 0xb853, v51
	v_fmamk_f16 v96, v3, 0xb08e, v59
	v_mul_f16_e32 v62, 0x3482, v62
	v_mul_f16_e32 v97, 0xb482, v49
	v_add_f16_e32 v86, v91, v86
	v_fma_f16 v91, v5, 0x3abb, -v93
	v_add_f16_sdwa v96, v0, v96 dst_sel:DWORD dst_unused:UNUSED_PAD src0_sel:WORD_1 src1_sel:DWORD
	v_fmamk_f16 v98, v4, 0xbbad, v62
	v_mul_f16_e32 v64, 0x3b47, v64
	v_mul_f16_e32 v95, 0x3b47, v72
	v_add_f16_e32 v86, v91, v86
	v_fma_f16 v91, v6, 0xbbad, -v97
	v_mul_f16_e32 v99, 0x3b47, v52
	v_add_f16_e32 v96, v98, v96
	v_fmamk_f16 v98, v7, 0x36a6, v64
	v_mul_f16_e32 v71, 0xb853, v71
	v_fmamk_f16 v100, v33, 0x36a6, v95
	v_add_f16_e32 v86, v91, v86
	v_fma_f16 v91, v30, 0x36a6, -v99
	v_add_f16_e32 v96, v98, v96
	v_fmamk_f16 v98, v25, 0x3abb, v71
	v_mul_f16_e32 v72, 0xba0c, v72
	v_mul_f16_e32 v53, 0xbbeb, v53
	v_add_f16_e32 v84, v100, v84
	v_add_f16_e32 v86, v91, v86
	;; [unrolled: 1-line block ×3, first 2 shown]
	v_fmamk_f16 v96, v33, 0xb93d, v72
	v_mul_f16_e32 v98, 0x36a6, v3
	v_fma_f16 v100, v1, 0xb08e, -v53
	v_mul_f16_e32 v54, 0x3482, v54
	v_mul_f16_e32 v101, 0xb93d, v4
	v_add_f16_e32 v91, v96, v91
	v_add_f16_e32 v69, v69, v98
	;; [unrolled: 1-line block ×3, first 2 shown]
	v_fma_f16 v98, v2, 0xbbad, -v54
	v_add_f16_e32 v70, v70, v101
	v_mul_f16_e32 v100, 0xbbad, v7
	v_add_f16_sdwa v69, v0, v69 dst_sel:DWORD dst_unused:UNUSED_PAD src0_sel:WORD_1 src1_sel:DWORD
	v_mul_f16_e32 v51, 0x3b47, v51
	v_add_f16_e32 v96, v98, v96
	v_mul_f16_e32 v98, 0x36a6, v1
	v_add_f16_e32 v68, v68, v100
	v_add_f16_e32 v69, v70, v69
	v_mul_f16_e32 v70, 0xb93d, v2
	v_fma_f16 v101, v5, 0x36a6, -v51
	v_sub_f16_e32 v67, v98, v67
	v_mul_f16_e32 v49, 0xb853, v49
	v_add_f16_e32 v68, v68, v69
	v_sub_f16_e32 v65, v70, v65
	v_mul_f16_e32 v69, 0xbbad, v5
	v_add_f16_e32 v67, v0, v67
	v_add_f16_e32 v96, v101, v96
	v_fma_f16 v70, v6, 0x3abb, -v49
	v_add_f16_sdwa v32, v0, v32 dst_sel:DWORD dst_unused:UNUSED_PAD src0_sel:WORD_1 src1_sel:DWORD
	v_sub_f16_e32 v63, v69, v63
	v_add_f16_e32 v65, v65, v67
	v_mul_f16_e32 v67, 0x3abb, v3
	v_add_f16_e32 v69, v70, v96
	v_mul_f16_e32 v70, 0xb08e, v6
	v_mul_f16_e32 v96, 0x36a6, v4
	v_add_f16_e32 v63, v63, v65
	v_add_f16_e32 v58, v58, v67
	v_mul_f16_e32 v65, 0x3abb, v33
	v_sub_f16_e32 v60, v70, v60
	v_add_f16_e32 v57, v57, v96
	v_add_f16_e32 v42, v0, v42
	v_add_f16_sdwa v58, v0, v58 dst_sel:DWORD dst_unused:UNUSED_PAD src0_sel:WORD_1 src1_sel:DWORD
	v_add_f16_e32 v61, v61, v65
	v_mul_f16_e32 v65, 0xb08e, v7
	v_add_f16_e32 v31, v32, v31
	v_add_f16_e32 v60, v60, v63
	v_add_f16_e32 v57, v57, v58
	v_mul_f16_e32 v63, 0xb93d, v25
	v_add_f16_e32 v56, v56, v65
	v_add_f16_e32 v41, v42, v41
	;; [unrolled: 4-line block ×3, first 2 shown]
	v_add_f16_e32 v40, v41, v40
	v_mul_f16_e32 v41, 0x3abb, v1
	v_add_f16_e32 v24, v29, v24
	v_sub_f16_e32 v29, v31, v45
	v_add_f16_e32 v42, v42, v56
	v_mul_f16_e32 v56, 0x36a6, v2
	v_add_f16_e32 v39, v40, v39
	v_sub_f16_e32 v40, v41, v46
	v_add_f16_e32 v23, v24, v23
	v_mul_f16_e32 v31, 0xb93d, v6
	v_sub_f16_e32 v41, v56, v47
	v_add_f16_e32 v38, v39, v38
	v_add_f16_e32 v39, v0, v40
	;; [unrolled: 1-line block ×3, first 2 shown]
	v_fma_f16 v23, v3, 0xbbad, -v73
	v_fmac_f16_e32 v92, 0xb93d, v1
	v_add_f16_e32 v37, v38, v37
	v_add_f16_e32 v38, v41, v39
	;; [unrolled: 1-line block ×3, first 2 shown]
	v_add_f16_sdwa v22, v0, v23 dst_sel:DWORD dst_unused:UNUSED_PAD src0_sel:WORD_1 src1_sel:DWORD
	v_fma_f16 v23, v4, 0x3abb, -v74
	v_add_f16_e32 v36, v37, v36
	v_mul_f16_e32 v37, 0xbbad, v30
	v_add_f16_e32 v24, v29, v38
	v_sub_f16_e32 v29, v31, v44
	v_add_f16_e32 v20, v21, v20
	v_add_f16_e32 v21, v23, v22
	v_fma_f16 v22, v7, 0xb93d, -v77
	v_mul_f16_e32 v32, 0xbbad, v33
	v_add_f16_e32 v24, v29, v24
	v_sub_f16_e32 v29, v37, v43
	v_add_f16_e32 v19, v20, v19
	v_fma_f16 v20, v3, 0xb93d, -v81
	v_add_f16_e32 v21, v22, v21
	v_fma_f16 v22, v25, 0x36a6, -v80
	;; [unrolled: 2-line block ×3, first 2 shown]
	v_add_f16_sdwa v20, v0, v20 dst_sel:DWORD dst_unused:UNUSED_PAD src0_sel:WORD_1 src1_sel:DWORD
	v_add_f16_e32 v18, v19, v18
	v_add_f16_e32 v19, v22, v21
	v_fma_f16 v22, v7, 0x3abb, -v87
	v_fmac_f16_e32 v94, 0xb08e, v2
	v_add_f16_e32 v20, v29, v20
	v_add_f16_e32 v29, v0, v92
	v_fma_f16 v3, v3, 0xb08e, -v59
	v_fmac_f16_e32 v75, 0xbbad, v1
	v_fmac_f16_e32 v53, 0xb08e, v1
	v_add_f16_e32 v20, v22, v20
	v_fma_f16 v22, v25, 0xbbad, -v90
	v_add_f16_e32 v32, v48, v32
	v_fmac_f16_e32 v93, 0x3abb, v5
	v_add_f16_sdwa v1, v0, v3 dst_sel:DWORD dst_unused:UNUSED_PAD src0_sel:WORD_1 src1_sel:DWORD
	v_fma_f16 v3, v4, 0xbbad, -v62
	v_add_f16_e32 v20, v22, v20
	v_add_f16_e32 v22, v94, v29
	;; [unrolled: 1-line block ×3, first 2 shown]
	v_fmac_f16_e32 v76, 0x3abb, v2
	v_add_f16_e32 v0, v0, v53
	v_fmac_f16_e32 v54, 0xbbad, v2
	v_mul_f16_e32 v98, 0xb08e, v25
	v_add_f16_e32 v31, v32, v42
	v_add_f16_e32 v32, v36, v35
	;; [unrolled: 1-line block ×3, first 2 shown]
	v_fmac_f16_e32 v97, 0xbbad, v6
	v_add_f16_e32 v1, v3, v1
	v_fma_f16 v2, v7, 0x36a6, -v64
	v_add_f16_e32 v23, v76, v23
	v_fmac_f16_e32 v79, 0xb93d, v5
	v_add_f16_e32 v0, v54, v0
	v_fmac_f16_e32 v51, 0x36a6, v5
	v_add_f16_e32 v66, v66, v98
	v_mul_f16_e32 v52, 0xba0c, v52
	v_mul_f16_e32 v58, 0x3abb, v30
	v_add_f16_e32 v32, v32, v34
	v_add_f16_e32 v3, v97, v4
	;; [unrolled: 1-line block ×3, first 2 shown]
	v_mov_b32_e32 v2, 0x84
	v_mov_b32_e32 v4, 2
	v_add_f16_e32 v21, v79, v23
	v_fmac_f16_e32 v83, 0x36a6, v6
	v_fma_f16 v23, v33, 0xb08e, -v88
	v_fma_f16 v5, v25, 0x3abb, -v71
	v_add_f16_e32 v0, v51, v0
	v_fmac_f16_e32 v49, 0x3abb, v6
	v_add_f16_e32 v66, v66, v68
	v_fma_f16 v65, v30, 0xb93d, -v52
	v_sub_f16_e32 v55, v58, v55
	v_add_f16_e32 v13, v32, v13
	v_mul_u32_u24_sdwa v2, v16, v2 dst_sel:DWORD dst_unused:UNUSED_PAD src0_sel:WORD_0 src1_sel:DWORD
	v_lshlrev_b32_sdwa v4, v4, v17 dst_sel:DWORD dst_unused:UNUSED_PAD src0_sel:DWORD src1_sel:BYTE_0
	v_add_f16_e32 v21, v83, v21
	v_fmac_f16_e32 v89, 0xb08e, v30
	v_add_f16_e32 v19, v23, v19
	v_fma_f16 v23, v33, 0x36a6, -v95
	v_fmac_f16_e32 v99, 0x36a6, v30
	v_add_f16_e32 v1, v5, v1
	v_fma_f16 v5, v33, 0xb93d, -v72
	v_add_f16_e32 v0, v49, v0
	v_fmac_f16_e32 v52, 0xb93d, v30
	v_add_f16_e32 v50, v65, v69
	v_add_f16_e32 v57, v61, v66
	v_add_f16_e32 v55, v55, v60
	v_add3_u32 v2, 0, v2, v4
	v_pack_b32_f16 v4, v13, v18
	v_pack_b32_f16 v6, v24, v31
	v_add_f16_e32 v21, v89, v21
	v_add_f16_e32 v7, v23, v20
	;; [unrolled: 1-line block ×5, first 2 shown]
	ds_write2_b32 v2, v4, v6 offset1:3
	v_pack_b32_f16 v4, v55, v57
	v_pack_b32_f16 v5, v50, v91
	;; [unrolled: 1-line block ×7, first 2 shown]
	v_perm_b32 v1, v28, v14, 0x5040100
	v_perm_b32 v7, v27, v26, 0x5040100
	ds_write2_b32 v2, v4, v5 offset0:6 offset1:9
	ds_write2_b32 v2, v6, v13 offset0:12 offset1:15
	;; [unrolled: 1-line block ×4, first 2 shown]
	ds_write_b32 v2, v7 offset:120
.LBB0_17:
	s_or_b32 exec_lo, exec_lo, s1
	v_add_nc_u16 v0, v10, 0x79
	v_mul_lo_u16 v1, 0xf9, v15
	v_mov_b32_e32 v3, 0xf83f
	v_mov_b32_e32 v5, 3
	s_waitcnt lgkmcnt(0)
	v_and_b32_e32 v2, 0xff, v0
	v_lshrrev_b16 v13, 13, v1
	v_add_nc_u32_e32 v1, 0xf2, v10
	s_barrier
	buffer_gl0_inv
	v_mul_lo_u16 v2, 0xf9, v2
	v_mul_lo_u16 v4, v13, 33
	v_mul_u32_u24_sdwa v3, v1, v3 dst_sel:DWORD dst_unused:UNUSED_PAD src0_sel:WORD_0 src1_sel:DWORD
	v_mov_b32_e32 v30, 0x18c
	v_mov_b32_e32 v34, 2
	v_lshrrev_b16 v23, 13, v2
	v_sub_nc_u16 v24, v10, v4
	v_lshrrev_b32_e32 v25, 21, v3
	v_mul_u32_u24_sdwa v13, v13, v30 dst_sel:DWORD dst_unused:UNUSED_PAD src0_sel:WORD_0 src1_sel:DWORD
	v_mul_lo_u16 v2, v23, 33
	v_lshlrev_b32_sdwa v3, v5, v24 dst_sel:DWORD dst_unused:UNUSED_PAD src0_sel:DWORD src1_sel:BYTE_0
	v_mul_lo_u16 v4, v25, 33
	v_lshlrev_b32_sdwa v24, v34, v24 dst_sel:DWORD dst_unused:UNUSED_PAD src0_sel:DWORD src1_sel:BYTE_0
	v_mul_u32_u24_e32 v25, 0x18c, v25
	v_sub_nc_u16 v29, v0, v2
	global_load_dwordx2 v[2:3], v3, s[12:13] offset:120
	v_sub_nc_u16 v32, v1, v4
	v_add3_u32 v13, 0, v13, v24
	v_mul_u32_u24_sdwa v23, v23, v30 dst_sel:DWORD dst_unused:UNUSED_PAD src0_sel:WORD_0 src1_sel:DWORD
	v_lshlrev_b32_sdwa v0, v5, v29 dst_sel:DWORD dst_unused:UNUSED_PAD src0_sel:DWORD src1_sel:BYTE_0
	v_lshlrev_b32_sdwa v29, v34, v29 dst_sel:DWORD dst_unused:UNUSED_PAD src0_sel:DWORD src1_sel:BYTE_0
	v_lshlrev_b32_sdwa v1, v5, v32 dst_sel:DWORD dst_unused:UNUSED_PAD src0_sel:DWORD src1_sel:WORD_0
	v_lshlrev_b32_sdwa v24, v34, v32 dst_sel:DWORD dst_unused:UNUSED_PAD src0_sel:DWORD src1_sel:WORD_0
	s_clause 0x1
	global_load_dwordx2 v[4:5], v0, s[12:13] offset:120
	global_load_dwordx2 v[6:7], v1, s[12:13] offset:120
	v_lshl_add_u32 v0, v10, 2, 0
	v_add3_u32 v24, 0, v25, v24
	v_add3_u32 v43, 0, v23, v29
	v_add_nc_u32_e32 v1, 0x200, v0
	v_add_nc_u32_e32 v15, 0xa00, v0
	;; [unrolled: 1-line block ×3, first 2 shown]
	ds_read2_b32 v[17:18], v0 offset1:121
	ds_read_b32 v33, v0 offset:3872
	ds_read2_b32 v[19:20], v1 offset0:114 offset1:235
	ds_read2_b32 v[15:16], v15 offset0:86 offset1:207
	;; [unrolled: 1-line block ×3, first 2 shown]
	s_waitcnt vmcnt(0) lgkmcnt(0)
	s_barrier
	buffer_gl0_inv
	v_lshrrev_b32_e32 v31, 16, v17
	v_lshrrev_b32_e32 v36, 16, v20
	;; [unrolled: 1-line block ×9, first 2 shown]
	v_mul_f16_sdwa v25, v2, v36 dst_sel:DWORD dst_unused:UNUSED_PAD src0_sel:WORD_1 src1_sel:DWORD
	v_mul_f16_sdwa v34, v2, v20 dst_sel:DWORD dst_unused:UNUSED_PAD src0_sel:WORD_1 src1_sel:DWORD
	;; [unrolled: 1-line block ×4, first 2 shown]
	v_fma_f16 v20, v2, v20, -v25
	v_fmac_f16_e32 v34, v2, v36
	v_fma_f16 v2, v3, v15, -v41
	v_fmac_f16_e32 v42, v3, v37
	v_mul_f16_sdwa v3, v4, v38 dst_sel:DWORD dst_unused:UNUSED_PAD src0_sel:WORD_1 src1_sel:DWORD
	v_mul_f16_sdwa v23, v4, v21 dst_sel:DWORD dst_unused:UNUSED_PAD src0_sel:WORD_1 src1_sel:DWORD
	;; [unrolled: 1-line block ×6, first 2 shown]
	v_mul_f16_sdwa v37, v35, v7 dst_sel:DWORD dst_unused:UNUSED_PAD src0_sel:DWORD src1_sel:WORD_1
	v_mul_f16_sdwa v41, v33, v7 dst_sel:DWORD dst_unused:UNUSED_PAD src0_sel:DWORD src1_sel:WORD_1
	v_add_f16_e32 v45, v20, v2
	v_sub_f16_e32 v46, v34, v42
	v_add_f16_e32 v47, v31, v34
	v_add_f16_e32 v34, v34, v42
	v_fma_f16 v3, v4, v21, -v3
	v_fmac_f16_e32 v23, v4, v38
	v_fma_f16 v4, v5, v16, -v15
	v_fmac_f16_e32 v25, v5, v39
	;; [unrolled: 2-line block ×4, first 2 shown]
	v_add_f16_e32 v44, v17, v20
	v_sub_f16_e32 v48, v20, v2
	v_fma_f16 v20, -0.5, v45, v17
	v_fmac_f16_e32 v31, -0.5, v34
	v_add_f16_e32 v7, v3, v4
	v_add_f16_e32 v22, v23, v25
	;; [unrolled: 1-line block ×3, first 2 shown]
	v_sub_f16_e32 v38, v36, v41
	v_add_f16_e32 v39, v32, v36
	v_add_f16_e32 v36, v36, v41
	;; [unrolled: 1-line block ×4, first 2 shown]
	v_fmamk_f16 v16, v46, 0x3aee, v20
	v_fmamk_f16 v33, v48, 0xbaee, v31
	v_add_f16_e32 v2, v18, v3
	v_sub_f16_e32 v37, v23, v25
	v_add_f16_e32 v17, v30, v23
	v_sub_f16_e32 v3, v3, v4
	v_fmac_f16_e32 v18, -0.5, v7
	v_fmac_f16_e32 v30, -0.5, v22
	v_add_f16_e32 v23, v19, v5
	v_sub_f16_e32 v5, v5, v6
	v_fmac_f16_e32 v19, -0.5, v35
	v_fmac_f16_e32 v32, -0.5, v36
	v_fmac_f16_e32 v20, 0xbaee, v46
	v_fmac_f16_e32 v31, 0x3aee, v48
	v_pack_b32_f16 v40, v15, v29
	v_add_f16_e32 v21, v2, v4
	v_add_f16_e32 v34, v17, v25
	v_pack_b32_f16 v2, v16, v33
	v_fmamk_f16 v17, v37, 0x3aee, v18
	v_fmamk_f16 v36, v3, 0xbaee, v30
	v_fmac_f16_e32 v18, 0xbaee, v37
	v_fmac_f16_e32 v30, 0x3aee, v3
	v_add_f16_e32 v22, v23, v6
	v_add_f16_e32 v35, v39, v41
	v_fmamk_f16 v23, v38, 0x3aee, v19
	v_fmamk_f16 v37, v5, 0xbaee, v32
	v_fmac_f16_e32 v19, 0xbaee, v38
	v_fmac_f16_e32 v32, 0x3aee, v5
	v_pack_b32_f16 v4, v20, v31
	ds_write2_b32 v13, v40, v2 offset1:33
	v_pack_b32_f16 v2, v21, v34
	v_pack_b32_f16 v5, v17, v36
	;; [unrolled: 1-line block ×6, first 2 shown]
	ds_write_b32 v13, v4 offset:264
	ds_write2_b32 v43, v2, v5 offset1:33
	ds_write_b32 v43, v6 offset:264
	ds_write2_b32 v24, v3, v7 offset1:33
	ds_write_b32 v24, v25 offset:264
	s_waitcnt lgkmcnt(0)
	s_barrier
	buffer_gl0_inv
	s_and_saveexec_b32 s1, s0
	s_cbranch_execz .LBB0_19
; %bb.18:
	v_add_nc_u32_e32 v2, 0xc00, v0
	v_add_nc_u32_e32 v3, 0x400, v0
	ds_read2_b32 v[15:16], v0 offset1:99
	ds_read_b32 v26, v0 offset:3960
	v_add_nc_u32_e32 v0, 0x800, v0
	ds_read2_b32 v[20:21], v1 offset0:70 offset1:169
	ds_read2_b32 v[13:14], v2 offset0:24 offset1:123
	;; [unrolled: 1-line block ×4, first 2 shown]
	s_waitcnt lgkmcnt(5)
	v_lshrrev_b32_e32 v29, 16, v15
	s_waitcnt lgkmcnt(4)
	v_lshrrev_b32_e32 v27, 16, v26
	v_lshrrev_b32_e32 v33, 16, v16
	s_waitcnt lgkmcnt(3)
	v_lshrrev_b32_e32 v31, 16, v20
	;; [unrolled: 3-line block ×5, first 2 shown]
	v_lshrrev_b32_e32 v37, 16, v23
	v_mov_b32_e32 v19, v13
.LBB0_19:
	s_or_b32 exec_lo, exec_lo, s1
	v_cmp_gt_u32_e64 s1, 0x63, v10
	s_and_b32 s1, vcc_lo, s1
	s_and_saveexec_b32 s4, s1
	s_cbranch_execz .LBB0_21
; %bb.20:
	v_add_nc_u32_e32 v0, 0xffffff9d, v10
	v_mov_b32_e32 v39, 0
	v_mul_lo_u32 v13, s3, v11
	v_lshlrev_b64 v[8:9], 2, v[8:9]
	v_cndmask_b32_e64 v0, v0, v10, s0
	v_mul_i32_i24_e32 v38, 10, v0
	v_lshlrev_b64 v[0:1], 2, v[38:39]
	v_mul_lo_u32 v38, s2, v12
	v_mad_u64_u32 v[11:12], null, s2, v11, 0
	v_add_co_u32 v4, vcc_lo, s12, v0
	v_add_co_ci_u32_e32 v5, vcc_lo, s13, v1, vcc_lo
	v_add3_u32 v12, v12, v38, v13
	s_clause 0x2
	global_load_dwordx4 v[0:3], v[4:5], off offset:384
	global_load_dwordx2 v[24:25], v[4:5], off offset:416
	global_load_dwordx4 v[4:7], v[4:5], off offset:400
	v_lshlrev_b64 v[12:13], 2, v[11:12]
	v_mov_b32_e32 v11, v39
	v_lshlrev_b64 v[10:11], 2, v[10:11]
	v_add_co_u32 v12, vcc_lo, s10, v12
	v_add_co_ci_u32_e32 v13, vcc_lo, s11, v13, vcc_lo
	v_add_co_u32 v8, vcc_lo, v12, v8
	v_add_co_ci_u32_e32 v9, vcc_lo, v13, v9, vcc_lo
	;; [unrolled: 2-line block ×4, first 2 shown]
	s_waitcnt vmcnt(2)
	v_mul_f16_sdwa v12, v33, v0 dst_sel:DWORD dst_unused:UNUSED_PAD src0_sel:DWORD src1_sel:WORD_1
	s_waitcnt vmcnt(1)
	v_mul_f16_sdwa v13, v27, v25 dst_sel:DWORD dst_unused:UNUSED_PAD src0_sel:DWORD src1_sel:WORD_1
	v_mul_f16_sdwa v39, v16, v0 dst_sel:DWORD dst_unused:UNUSED_PAD src0_sel:DWORD src1_sel:WORD_1
	;; [unrolled: 1-line block ×10, first 2 shown]
	s_waitcnt vmcnt(0)
	v_mul_f16_sdwa v52, v30, v4 dst_sel:DWORD dst_unused:UNUSED_PAD src0_sel:DWORD src1_sel:WORD_1
	v_mul_f16_sdwa v55, v18, v4 dst_sel:DWORD dst_unused:UNUSED_PAD src0_sel:DWORD src1_sel:WORD_1
	v_fma_f16 v12, v16, v0, -v12
	v_fma_f16 v13, v26, v25, -v13
	v_fmac_f16_e32 v39, v33, v0
	v_mul_f16_sdwa v42, v14, v24 dst_sel:DWORD dst_unused:UNUSED_PAD src0_sel:DWORD src1_sel:WORD_1
	v_fmac_f16_e32 v38, v27, v25
	v_fma_f16 v0, v20, v1, -v40
	v_fma_f16 v14, v14, v24, -v41
	v_fmac_f16_e32 v43, v31, v1
	v_fma_f16 v1, v21, v2, -v44
	v_fmac_f16_e32 v47, v34, v2
	;; [unrolled: 2-line block ×4, first 2 shown]
	v_sub_f16_e32 v4, v12, v13
	v_add_f16_e32 v25, v12, v13
	v_add_f16_e32 v12, v15, v12
	;; [unrolled: 1-line block ×3, first 2 shown]
	v_mul_f16_sdwa v45, v32, v7 dst_sel:DWORD dst_unused:UNUSED_PAD src0_sel:DWORD src1_sel:WORD_1
	v_mul_f16_sdwa v46, v19, v7 dst_sel:DWORD dst_unused:UNUSED_PAD src0_sel:DWORD src1_sel:WORD_1
	;; [unrolled: 1-line block ×6, first 2 shown]
	v_sub_f16_e32 v17, v0, v14
	v_add_f16_e32 v27, v0, v14
	v_add_f16_e32 v0, v12, v0
	;; [unrolled: 1-line block ×3, first 2 shown]
	v_fmac_f16_e32 v42, v28, v24
	v_fma_f16 v16, v19, v7, -v45
	v_fmac_f16_e32 v46, v32, v7
	v_fma_f16 v7, v23, v6, -v49
	;; [unrolled: 2-line block ×3, first 2 shown]
	v_fmac_f16_e32 v54, v35, v5
	v_sub_f16_e32 v26, v39, v38
	v_add_f16_e32 v0, v0, v1
	v_add_f16_e32 v12, v12, v47
	v_add_f16_e32 v5, v39, v38
	v_sub_f16_e32 v19, v1, v16
	v_sub_f16_e32 v21, v2, v7
	;; [unrolled: 1-line block ×7, first 2 shown]
	v_mul_f16_e32 v37, 0xb482, v4
	v_mul_f16_e32 v45, 0xb482, v26
	;; [unrolled: 1-line block ×10, first 2 shown]
	v_add_f16_e32 v34, v2, v7
	v_add_f16_e32 v0, v0, v2
	;; [unrolled: 1-line block ×9, first 2 shown]
	v_mul_f16_e32 v39, 0x3853, v17
	v_mul_f16_e32 v40, 0xba0c, v19
	;; [unrolled: 1-line block ×40, first 2 shown]
	v_fmamk_f16 v84, v5, 0xbbad, v37
	v_fma_f16 v89, v25, 0xbbad, -v45
	v_fma_f16 v97, v25, 0xb93d, -v59
	;; [unrolled: 1-line block ×5, first 2 shown]
	v_fmac_f16_e32 v45, 0xbbad, v25
	v_fmamk_f16 v47, v5, 0x3abb, v4
	v_fma_f16 v37, v5, 0xbbad, -v37
	v_fmamk_f16 v92, v5, 0xb93d, v52
	v_fmamk_f16 v100, v5, 0xb08e, v62
	;; [unrolled: 1-line block ×3, first 2 shown]
	v_fmac_f16_e32 v59, 0xb93d, v25
	v_fma_f16 v52, v5, 0xb93d, -v52
	v_fmac_f16_e32 v67, 0xb08e, v25
	v_fmac_f16_e32 v75, 0x36a6, v25
	;; [unrolled: 1-line block ×3, first 2 shown]
	v_fma_f16 v62, v5, 0xb08e, -v62
	v_fma_f16 v70, v5, 0x36a6, -v70
	v_add_f16_e32 v0, v0, v3
	v_add_f16_e32 v2, v2, v55
	v_fmamk_f16 v85, v18, 0x3abb, v39
	v_fmamk_f16 v86, v20, 0xb93d, v40
	v_fmamk_f16 v87, v22, 0x36a6, v41
	v_fmamk_f16 v88, v24, 0xb08e, v44
	v_fma_f16 v90, v27, 0x3abb, -v48
	v_fma_f16 v91, v30, 0xb93d, -v49
	v_fmamk_f16 v93, v18, 0xb08e, v53
	v_fmamk_f16 v94, v20, 0x3abb, v56
	v_fmamk_f16 v95, v22, 0xbbad, v57
	v_fmamk_f16 v96, v24, 0x36a6, v58
	v_fma_f16 v98, v27, 0xb08e, -v60
	v_fma_f16 v99, v30, 0x3abb, -v61
	;; [unrolled: 6-line block ×4, first 2 shown]
	v_fma_f16 v4, v5, 0x3abb, -v4
	v_fmamk_f16 v5, v18, 0x36a6, v17
	v_fma_f16 v39, v18, 0x3abb, -v39
	v_fma_f16 v53, v18, 0xb08e, -v53
	v_fma_f16 v63, v18, 0xbbad, -v63
	v_fma_f16 v71, v18, 0xb93d, -v71
	v_fma_f16 v17, v18, 0x36a6, -v17
	v_fmamk_f16 v18, v20, 0xb08e, v19
	v_fma_f16 v40, v20, 0xb93d, -v40
	v_fma_f16 v56, v20, 0x3abb, -v56
	v_fma_f16 v64, v20, 0x36a6, -v64
	v_fma_f16 v72, v20, 0xbbad, -v72
	;; [unrolled: 6-line block ×4, first 2 shown]
	v_fma_f16 v23, v24, 0xbbad, -v23
	v_fma_f16 v24, v27, 0x36a6, -v28
	v_fmac_f16_e32 v48, 0x3abb, v27
	v_fmac_f16_e32 v60, 0xb08e, v27
	v_fmac_f16_e32 v68, 0xbbad, v27
	v_fmac_f16_e32 v76, 0xb93d, v27
	v_fmac_f16_e32 v28, 0x36a6, v27
	v_fma_f16 v27, v30, 0xb08e, -v31
	v_fmac_f16_e32 v49, 0xb93d, v30
	v_fmac_f16_e32 v61, 0x3abb, v30
	;; [unrolled: 1-line block ×5, first 2 shown]
	v_fma_f16 v30, v34, 0x36a6, -v33
	v_fmac_f16_e32 v33, 0x36a6, v34
	v_fma_f16 v115, v34, 0xbbad, -v43
	v_fmac_f16_e32 v43, 0xbbad, v34
	;; [unrolled: 2-line block ×10, first 2 shown]
	v_add_f16_e32 v36, v15, v89
	v_add_f16_e32 v89, v15, v97
	;; [unrolled: 1-line block ×110, first 2 shown]
	v_pack_b32_f16 v5, v18, v5
	v_pack_b32_f16 v3, v6, v3
	;; [unrolled: 1-line block ×11, first 2 shown]
	global_store_dword v[8:9], v5, off offset:396
	global_store_dword v[8:9], v1, off offset:792
	global_store_dword v[8:9], v14, off offset:1188
	global_store_dword v[8:9], v18, off offset:1584
	global_store_dword v[8:9], v12, off offset:1980
	global_store_dword v[10:11], v3, off offset:328
	global_store_dword v[10:11], v6, off offset:724
	global_store_dword v[10:11], v7, off offset:1120
	global_store_dword v[10:11], v16, off offset:1516
	global_store_dword v[8:9], v0, off
	global_store_dword v[10:11], v4, off offset:1912
.LBB0_21:
	s_endpgm
	.section	.rodata,"a",@progbits
	.p2align	6, 0x0
	.amdhsa_kernel fft_rtc_fwd_len1089_factors_3_11_3_11_wgs_121_tpt_121_half_op_CI_CI_unitstride_sbrr_dirReg
		.amdhsa_group_segment_fixed_size 0
		.amdhsa_private_segment_fixed_size 0
		.amdhsa_kernarg_size 104
		.amdhsa_user_sgpr_count 6
		.amdhsa_user_sgpr_private_segment_buffer 1
		.amdhsa_user_sgpr_dispatch_ptr 0
		.amdhsa_user_sgpr_queue_ptr 0
		.amdhsa_user_sgpr_kernarg_segment_ptr 1
		.amdhsa_user_sgpr_dispatch_id 0
		.amdhsa_user_sgpr_flat_scratch_init 0
		.amdhsa_user_sgpr_private_segment_size 0
		.amdhsa_wavefront_size32 1
		.amdhsa_uses_dynamic_stack 0
		.amdhsa_system_sgpr_private_segment_wavefront_offset 0
		.amdhsa_system_sgpr_workgroup_id_x 1
		.amdhsa_system_sgpr_workgroup_id_y 0
		.amdhsa_system_sgpr_workgroup_id_z 0
		.amdhsa_system_sgpr_workgroup_info 0
		.amdhsa_system_vgpr_workitem_id 0
		.amdhsa_next_free_vgpr 123
		.amdhsa_next_free_sgpr 27
		.amdhsa_reserve_vcc 1
		.amdhsa_reserve_flat_scratch 0
		.amdhsa_float_round_mode_32 0
		.amdhsa_float_round_mode_16_64 0
		.amdhsa_float_denorm_mode_32 3
		.amdhsa_float_denorm_mode_16_64 3
		.amdhsa_dx10_clamp 1
		.amdhsa_ieee_mode 1
		.amdhsa_fp16_overflow 0
		.amdhsa_workgroup_processor_mode 1
		.amdhsa_memory_ordered 1
		.amdhsa_forward_progress 0
		.amdhsa_shared_vgpr_count 0
		.amdhsa_exception_fp_ieee_invalid_op 0
		.amdhsa_exception_fp_denorm_src 0
		.amdhsa_exception_fp_ieee_div_zero 0
		.amdhsa_exception_fp_ieee_overflow 0
		.amdhsa_exception_fp_ieee_underflow 0
		.amdhsa_exception_fp_ieee_inexact 0
		.amdhsa_exception_int_div_zero 0
	.end_amdhsa_kernel
	.text
.Lfunc_end0:
	.size	fft_rtc_fwd_len1089_factors_3_11_3_11_wgs_121_tpt_121_half_op_CI_CI_unitstride_sbrr_dirReg, .Lfunc_end0-fft_rtc_fwd_len1089_factors_3_11_3_11_wgs_121_tpt_121_half_op_CI_CI_unitstride_sbrr_dirReg
                                        ; -- End function
	.section	.AMDGPU.csdata,"",@progbits
; Kernel info:
; codeLenInByte = 8368
; NumSgprs: 29
; NumVgprs: 123
; ScratchSize: 0
; MemoryBound: 0
; FloatMode: 240
; IeeeMode: 1
; LDSByteSize: 0 bytes/workgroup (compile time only)
; SGPRBlocks: 3
; VGPRBlocks: 15
; NumSGPRsForWavesPerEU: 29
; NumVGPRsForWavesPerEU: 123
; Occupancy: 8
; WaveLimiterHint : 1
; COMPUTE_PGM_RSRC2:SCRATCH_EN: 0
; COMPUTE_PGM_RSRC2:USER_SGPR: 6
; COMPUTE_PGM_RSRC2:TRAP_HANDLER: 0
; COMPUTE_PGM_RSRC2:TGID_X_EN: 1
; COMPUTE_PGM_RSRC2:TGID_Y_EN: 0
; COMPUTE_PGM_RSRC2:TGID_Z_EN: 0
; COMPUTE_PGM_RSRC2:TIDIG_COMP_CNT: 0
	.text
	.p2alignl 6, 3214868480
	.fill 48, 4, 3214868480
	.type	__hip_cuid_617479dccac0ed5b,@object ; @__hip_cuid_617479dccac0ed5b
	.section	.bss,"aw",@nobits
	.globl	__hip_cuid_617479dccac0ed5b
__hip_cuid_617479dccac0ed5b:
	.byte	0                               ; 0x0
	.size	__hip_cuid_617479dccac0ed5b, 1

	.ident	"AMD clang version 19.0.0git (https://github.com/RadeonOpenCompute/llvm-project roc-6.4.0 25133 c7fe45cf4b819c5991fe208aaa96edf142730f1d)"
	.section	".note.GNU-stack","",@progbits
	.addrsig
	.addrsig_sym __hip_cuid_617479dccac0ed5b
	.amdgpu_metadata
---
amdhsa.kernels:
  - .args:
      - .actual_access:  read_only
        .address_space:  global
        .offset:         0
        .size:           8
        .value_kind:     global_buffer
      - .offset:         8
        .size:           8
        .value_kind:     by_value
      - .actual_access:  read_only
        .address_space:  global
        .offset:         16
        .size:           8
        .value_kind:     global_buffer
      - .actual_access:  read_only
        .address_space:  global
        .offset:         24
        .size:           8
        .value_kind:     global_buffer
      - .actual_access:  read_only
        .address_space:  global
        .offset:         32
        .size:           8
        .value_kind:     global_buffer
      - .offset:         40
        .size:           8
        .value_kind:     by_value
      - .actual_access:  read_only
        .address_space:  global
        .offset:         48
        .size:           8
        .value_kind:     global_buffer
      - .actual_access:  read_only
        .address_space:  global
        .offset:         56
        .size:           8
        .value_kind:     global_buffer
      - .offset:         64
        .size:           4
        .value_kind:     by_value
      - .actual_access:  read_only
        .address_space:  global
        .offset:         72
        .size:           8
        .value_kind:     global_buffer
      - .actual_access:  read_only
        .address_space:  global
        .offset:         80
        .size:           8
        .value_kind:     global_buffer
      - .actual_access:  read_only
        .address_space:  global
        .offset:         88
        .size:           8
        .value_kind:     global_buffer
      - .actual_access:  write_only
        .address_space:  global
        .offset:         96
        .size:           8
        .value_kind:     global_buffer
    .group_segment_fixed_size: 0
    .kernarg_segment_align: 8
    .kernarg_segment_size: 104
    .language:       OpenCL C
    .language_version:
      - 2
      - 0
    .max_flat_workgroup_size: 121
    .name:           fft_rtc_fwd_len1089_factors_3_11_3_11_wgs_121_tpt_121_half_op_CI_CI_unitstride_sbrr_dirReg
    .private_segment_fixed_size: 0
    .sgpr_count:     29
    .sgpr_spill_count: 0
    .symbol:         fft_rtc_fwd_len1089_factors_3_11_3_11_wgs_121_tpt_121_half_op_CI_CI_unitstride_sbrr_dirReg.kd
    .uniform_work_group_size: 1
    .uses_dynamic_stack: false
    .vgpr_count:     123
    .vgpr_spill_count: 0
    .wavefront_size: 32
    .workgroup_processor_mode: 1
amdhsa.target:   amdgcn-amd-amdhsa--gfx1030
amdhsa.version:
  - 1
  - 2
...

	.end_amdgpu_metadata
